;; amdgpu-corpus repo=ROCm/rocFFT kind=compiled arch=gfx1201 opt=O3
	.text
	.amdgcn_target "amdgcn-amd-amdhsa--gfx1201"
	.amdhsa_code_object_version 6
	.protected	fft_rtc_back_len200_factors_8_5_5_wgs_400_tpt_40_sp_op_CI_CI_sbrc_z_xy_aligned ; -- Begin function fft_rtc_back_len200_factors_8_5_5_wgs_400_tpt_40_sp_op_CI_CI_sbrc_z_xy_aligned
	.globl	fft_rtc_back_len200_factors_8_5_5_wgs_400_tpt_40_sp_op_CI_CI_sbrc_z_xy_aligned
	.p2align	8
	.type	fft_rtc_back_len200_factors_8_5_5_wgs_400_tpt_40_sp_op_CI_CI_sbrc_z_xy_aligned,@function
fft_rtc_back_len200_factors_8_5_5_wgs_400_tpt_40_sp_op_CI_CI_sbrc_z_xy_aligned: ; @fft_rtc_back_len200_factors_8_5_5_wgs_400_tpt_40_sp_op_CI_CI_sbrc_z_xy_aligned
; %bb.0:
	s_load_b256 s[4:11], s[0:1], 0x0
	v_mov_b32_e32 v13, 0
	s_load_b64 s[18:19], s[0:1], 0x20
	s_wait_kmcnt 0x0
	s_load_b128 s[12:15], s[8:9], 0x8
	s_load_b32 s20, s[10:11], 0x10
	s_wait_kmcnt 0x0
	s_add_co_i32 s2, s12, -1
	s_delay_alu instid0(SALU_CYCLE_1) | instskip(NEXT) | instid1(SALU_CYCLE_1)
	s_mul_hi_u32 s2, s2, 0xcccccccd
	s_lshr_b32 s2, s2, 3
	s_delay_alu instid0(SALU_CYCLE_1) | instskip(NEXT) | instid1(SALU_CYCLE_1)
	s_add_co_i32 s3, s2, 1
	s_mul_i32 s8, s3, s14
	s_cvt_f32_u32 s12, s3
	s_cvt_f32_u32 s9, s8
	s_sub_co_i32 s13, 0, s8
	s_delay_alu instid0(SALU_CYCLE_2) | instskip(NEXT) | instid1(TRANS32_DEP_1)
	v_rcp_iflag_f32_e32 v1, s9
	v_readfirstlane_b32 s9, v1
	v_mul_u32_u24_e32 v1, 0x148, v0
	s_delay_alu instid0(VALU_DEP_2) | instskip(NEXT) | instid1(VALU_DEP_1)
	s_mul_f32 s9, s9, 0x4f7ffffe
	v_lshrrev_b32_e32 v11, 16, v1
	v_rcp_iflag_f32_e32 v1, s12
	s_wait_alu 0xfffe
	s_cvt_u32_f32 s9, s9
	s_delay_alu instid0(VALU_DEP_1) | instskip(SKIP_1) | instid1(SALU_CYCLE_1)
	v_mul_lo_u16 v2, 0xc8, v11
	s_wait_alu 0xfffe
	s_mul_i32 s13, s13, s9
	s_wait_alu 0xfffe
	s_mul_hi_u32 s12, s9, s13
	v_sub_nc_u16 v2, v0, v2
	s_wait_alu 0xfffe
	s_add_co_i32 s9, s9, s12
	v_readfirstlane_b32 s13, v1
	s_wait_alu 0xfffe
	s_mul_hi_u32 s9, ttmp9, s9
	s_wait_alu 0xfffe
	s_mul_i32 s12, s9, s8
	s_add_co_i32 s14, s9, 1
	s_wait_alu 0xfffe
	s_sub_co_i32 s12, ttmp9, s12
	s_mul_f32 s13, s13, 0x4f7ffffe
	s_wait_alu 0xfffe
	s_sub_co_i32 s15, s12, s8
	s_cmp_ge_u32 s12, s8
	v_and_b32_e32 v14, 0xffff, v2
	s_cselect_b32 s9, s14, s9
	s_cselect_b32 s12, s15, s12
	s_wait_alu 0xfffe
	s_add_co_i32 s14, s9, 1
	s_cmp_ge_u32 s12, s8
	s_cvt_u32_f32 s17, s13
	s_cselect_b32 s16, s14, s9
	s_not_b32 s2, s2
	s_mul_i32 s8, s16, s8
	s_mul_i32 s2, s2, s17
	s_wait_alu 0xfffe
	s_sub_co_i32 s8, ttmp9, s8
	s_mul_hi_u32 s2, s17, s2
	s_load_b128 s[12:15], s[10:11], 0x0
	s_add_co_i32 s17, s17, s2
	s_delay_alu instid0(SALU_CYCLE_1)
	s_mul_hi_u32 s2, s8, s17
	s_mul_hi_u32 s17, ttmp9, s17
	s_mul_i32 s9, s2, s3
	s_mul_i32 s17, s17, s3
	s_wait_alu 0xfffe
	s_sub_co_i32 s8, s8, s9
	s_add_co_i32 s9, s2, 1
	s_wait_kmcnt 0x0
	s_wait_alu 0xfffe
	s_sub_co_i32 s15, s8, s3
	s_cmp_ge_u32 s8, s3
	s_cselect_b32 s2, s9, s2
	s_cselect_b32 s8, s15, s8
	s_add_co_i32 s9, s2, 1
	s_wait_alu 0xfffe
	s_cmp_ge_u32 s8, s3
	s_cselect_b32 s15, s9, s2
	s_sub_co_i32 s2, ttmp9, s17
	s_mov_b32 s17, 0
	s_sub_co_i32 s8, s2, s3
	s_cmp_ge_u32 s2, s3
	v_mad_co_u64_u32 v[1:2], null, s12, v14, 0
	s_wait_alu 0xfffe
	s_cselect_b32 s2, s8, s2
	v_mul_lo_u32 v12, s14, v11
	s_sub_co_i32 s8, s2, s3
	s_cmp_ge_u32 s2, s3
	v_mul_u32_u24_e32 v11, 0x640, v11
	s_wait_alu 0xfffe
	s_cselect_b32 s21, s8, s2
	s_lshl_b64 s[2:3], s[6:7], 3
	v_mad_co_u64_u32 v[2:3], null, s13, v14, v[2:3]
	s_add_nc_u64 s[6:7], s[10:11], s[2:3]
	v_lshlrev_b64_e32 v[3:4], 3, v[12:13]
	s_load_b64 s[12:13], s[6:7], 0x0
	s_load_b128 s[8:11], s[0:1], 0x58
	s_lshl_b32 s7, s14, 1
	s_mul_i32 s6, s21, 10
	v_add_nc_u32_e32 v12, s7, v12
	s_mul_i32 s0, s15, s20
	s_mul_i32 s14, s6, s14
	s_mov_b32 s1, s17
	v_lshlrev_b64_e32 v[1:2], 3, v[1:2]
	s_wait_alu 0xfffe
	s_add_co_i32 s0, s14, s0
	v_lshlrev_b64_e32 v[5:6], 3, v[12:13]
	v_add_nc_u32_e32 v12, s7, v12
	s_lshl_b64 s[0:1], s[0:1], 3
	v_lshlrev_b32_e32 v14, 3, v14
	s_delay_alu instid0(VALU_DEP_2) | instskip(SKIP_1) | instid1(VALU_DEP_3)
	v_lshlrev_b64_e32 v[7:8], 3, v[12:13]
	v_add_nc_u32_e32 v12, s7, v12
	v_add3_u32 v11, 0, v11, v14
	s_wait_kmcnt 0x0
	s_mul_u64 s[12:13], s[12:13], s[16:17]
	s_wait_alu 0xfffe
	s_lshl_b64 s[12:13], s[12:13], 3
	v_lshlrev_b64_e32 v[9:10], 3, v[12:13]
	s_wait_alu 0xfffe
	s_add_nc_u64 s[8:9], s[8:9], s[12:13]
	v_add_nc_u32_e32 v12, s7, v12
	s_wait_alu 0xfffe
	s_add_nc_u64 s[0:1], s[8:9], s[0:1]
	s_add_nc_u64 s[12:13], s[18:19], s[2:3]
	v_add_co_u32 v15, vcc_lo, s0, v1
	v_add_co_ci_u32_e32 v16, vcc_lo, s1, v2, vcc_lo
	v_lshlrev_b64_e32 v[1:2], 3, v[12:13]
	s_delay_alu instid0(VALU_DEP_3) | instskip(SKIP_1) | instid1(VALU_DEP_3)
	v_add_co_u32 v3, vcc_lo, v15, v3
	s_wait_alu 0xfffd
	v_add_co_ci_u32_e32 v4, vcc_lo, v16, v4, vcc_lo
	v_add_co_u32 v5, vcc_lo, v15, v5
	s_wait_alu 0xfffd
	v_add_co_ci_u32_e32 v6, vcc_lo, v16, v6, vcc_lo
	;; [unrolled: 3-line block ×5, first 2 shown]
	s_clause 0x4
	global_load_b64 v[3:4], v[3:4], off
	global_load_b64 v[5:6], v[5:6], off
	;; [unrolled: 1-line block ×5, first 2 shown]
	v_mul_u32_u24_e32 v12, 0x667, v0
	s_clause 0x2
	s_load_b128 s[0:3], s[18:19], 0x0
	s_load_b64 s[8:9], s[18:19], 0x10
	s_load_b64 s[12:13], s[12:13], 0x0
	s_wait_kmcnt 0x0
	s_mov_b32 s3, exec_lo
	s_wait_loadcnt 0x4
	ds_store_b64 v11, v[3:4]
	s_wait_loadcnt 0x3
	ds_store_b64 v11, v[5:6] offset:3200
	s_wait_loadcnt 0x2
	ds_store_b64 v11, v[7:8] offset:6400
	;; [unrolled: 2-line block ×4, first 2 shown]
	v_lshrrev_b32_e32 v12, 16, v12
	global_wb scope:SCOPE_SE
	s_wait_dscnt 0x0
	s_barrier_signal -1
	s_barrier_wait -1
	global_inv scope:SCOPE_SE
	v_add_nc_u32_e32 v15, s6, v12
	v_mul_lo_u16 v12, v12, 40
	s_delay_alu instid0(VALU_DEP_2) | instskip(NEXT) | instid1(VALU_DEP_2)
	v_mul_hi_u32 v16, 0xcccccccd, v15
	v_sub_nc_u16 v23, v0, v12
	s_delay_alu instid0(VALU_DEP_1) | instskip(NEXT) | instid1(VALU_DEP_3)
	v_and_b32_e32 v20, 0xffff, v23
	v_lshrrev_b32_e32 v16, 3, v16
	s_delay_alu instid0(VALU_DEP_1) | instskip(NEXT) | instid1(VALU_DEP_1)
	v_mul_lo_u32 v16, v16, 10
	v_sub_nc_u32_e32 v12, v15, v16
	s_delay_alu instid0(VALU_DEP_4) | instskip(NEXT) | instid1(VALU_DEP_2)
	v_lshlrev_b32_e32 v15, 3, v20
	v_mul_u32_u24_e32 v12, 0xc8, v12
	s_delay_alu instid0(VALU_DEP_2) | instskip(NEXT) | instid1(VALU_DEP_2)
	v_add_nc_u32_e32 v22, 0, v15
	v_lshlrev_b32_e32 v21, 3, v12
	s_delay_alu instid0(VALU_DEP_1)
	v_add_nc_u32_e32 v18, v22, v21
	v_add3_u32 v19, 0, v21, v15
	ds_load_2addr_b64 v[1:4], v18 offset0:25 offset1:50
	ds_load_2addr_b64 v[5:8], v18 offset0:75 offset1:100
	;; [unrolled: 1-line block ×3, first 2 shown]
	ds_load_b64 v[14:15], v19
	ds_load_b64 v[16:17], v18 offset:1400
	global_wb scope:SCOPE_SE
	s_wait_dscnt 0x0
	s_barrier_signal -1
	s_barrier_wait -1
	global_inv scope:SCOPE_SE
	v_cmpx_gt_u16_e32 25, v23
	s_cbranch_execz .LBB0_2
; %bb.1:
	v_dual_sub_f32 v23, v15, v8 :: v_dual_sub_f32 v24, v2, v10
	v_dual_sub_f32 v11, v3, v11 :: v_dual_sub_f32 v10, v5, v16
	v_sub_f32_e32 v16, v6, v17
	v_dual_sub_f32 v9, v1, v9 :: v_dual_sub_f32 v12, v4, v12
	s_delay_alu instid0(VALU_DEP_3) | instskip(NEXT) | instid1(VALU_DEP_4)
	v_dual_sub_f32 v17, v14, v7 :: v_dual_sub_f32 v26, v24, v10
	v_sub_f32_e32 v25, v23, v11
	s_delay_alu instid0(VALU_DEP_3) | instskip(SKIP_1) | instid1(VALU_DEP_4)
	v_add_f32_e32 v27, v9, v16
	v_fma_f32 v15, v15, 2.0, -v23
	v_add_f32_e32 v28, v17, v12
	v_fma_f32 v4, v4, 2.0, -v12
	v_fmamk_f32 v8, v26, 0x3f3504f3, v25
	v_fma_f32 v1, v1, 2.0, -v9
	v_fma_f32 v5, v5, 2.0, -v10
	v_fmamk_f32 v7, v27, 0x3f3504f3, v28
	s_delay_alu instid0(VALU_DEP_4) | instskip(SKIP_1) | instid1(VALU_DEP_4)
	v_dual_sub_f32 v29, v15, v4 :: v_dual_fmac_f32 v8, 0xbf3504f3, v27
	v_fma_f32 v14, v14, 2.0, -v17
	v_sub_f32_e32 v30, v1, v5
	v_fma_f32 v3, v3, 2.0, -v11
	v_fma_f32 v31, v2, 2.0, -v24
	;; [unrolled: 1-line block ×3, first 2 shown]
	v_fmac_f32_e32 v7, 0x3f3504f3, v26
	v_fma_f32 v5, v25, 2.0, -v8
	v_dual_sub_f32 v10, v29, v30 :: v_dual_sub_f32 v3, v14, v3
	v_fma_f32 v16, v23, 2.0, -v25
	v_fma_f32 v23, v24, 2.0, -v26
	;; [unrolled: 1-line block ×4, first 2 shown]
	v_sub_f32_e32 v6, v31, v6
	v_fma_f32 v26, v15, 2.0, -v29
	v_fma_f32 v27, v14, 2.0, -v3
	;; [unrolled: 1-line block ×3, first 2 shown]
	v_fmamk_f32 v11, v24, 0xbf3504f3, v25
	v_fma_f32 v15, v31, 2.0, -v6
	v_fmamk_f32 v12, v23, 0xbf3504f3, v16
	v_fma_f32 v4, v28, 2.0, -v7
	s_delay_alu instid0(VALU_DEP_4) | instskip(NEXT) | instid1(VALU_DEP_4)
	v_dual_sub_f32 v14, v27, v1 :: v_dual_fmac_f32 v11, 0x3f3504f3, v23
	v_sub_f32_e32 v15, v26, v15
	s_delay_alu instid0(VALU_DEP_4) | instskip(SKIP_1) | instid1(VALU_DEP_4)
	v_dual_add_f32 v9, v3, v6 :: v_dual_fmac_f32 v12, 0xbf3504f3, v24
	v_mul_u32_u24_e32 v1, 56, v20
	v_fma_f32 v23, v27, 2.0, -v14
	s_delay_alu instid0(VALU_DEP_4)
	v_fma_f32 v24, v26, 2.0, -v15
	v_fma_f32 v2, v29, 2.0, -v10
	;; [unrolled: 1-line block ×4, first 2 shown]
	v_add3_u32 v6, v22, v1, v21
	v_fma_f32 v1, v3, 2.0, -v9
	ds_store_2addr_b64 v6, v[23:24], v[16:17] offset1:1
	ds_store_2addr_b64 v6, v[1:2], v[4:5] offset0:2 offset1:3
	ds_store_2addr_b64 v6, v[14:15], v[11:12] offset0:4 offset1:5
	;; [unrolled: 1-line block ×3, first 2 shown]
.LBB0_2:
	s_or_b32 exec_lo, exec_lo, s3
	v_and_b32_e32 v22, 7, v20
	global_wb scope:SCOPE_SE
	s_wait_dscnt 0x0
	s_barrier_signal -1
	s_barrier_wait -1
	global_inv scope:SCOPE_SE
	v_lshlrev_b32_e32 v5, 5, v22
	v_lshrrev_b32_e32 v23, 3, v20
	s_mov_b32 s7, s17
	s_mul_i32 s2, s15, s2
	s_wait_alu 0xfffe
	s_mul_u64 s[6:7], s[0:1], s[6:7]
	s_clause 0x1
	global_load_b128 v[1:4], v5, s[4:5]
	global_load_b128 v[5:8], v5, s[4:5] offset:16
	ds_load_2addr_b64 v[9:12], v18 offset0:40 offset1:80
	ds_load_2addr_b64 v[14:17], v18 offset0:120 offset1:160
	v_mul_u32_u24_e32 v23, 40, v23
	s_mov_b32 s3, s17
	s_wait_alu 0xfffe
	s_lshl_b64 s[6:7], s[6:7], 3
	s_lshl_b64 s[2:3], s[2:3], 3
	s_wait_alu 0xfffe
	s_add_nc_u64 s[6:7], s[10:11], s[6:7]
	s_wait_alu 0xfffe
	s_add_nc_u64 s[2:3], s[6:7], s[2:3]
	s_wait_loadcnt_dscnt 0x101
	v_mul_f32_e32 v25, v4, v12
	s_wait_loadcnt_dscnt 0x0
	v_mul_f32_e32 v27, v8, v17
	v_or_b32_e32 v22, v23, v22
	s_delay_alu instid0(VALU_DEP_3) | instskip(NEXT) | instid1(VALU_DEP_2)
	v_dual_fmac_f32 v25, v3, v11 :: v_dual_lshlrev_b32 v20, 5, v20
	v_dual_fmac_f32 v27, v7, v16 :: v_dual_lshlrev_b32 v24, 3, v22
	ds_load_2addr_b32 v[22:23], v19 offset1:1
	global_wb scope:SCOPE_SE
	s_wait_dscnt 0x0
	s_barrier_signal -1
	s_barrier_wait -1
	v_add3_u32 v21, 0, v24, v21
	v_mul_f32_e32 v24, v2, v10
	v_mul_f32_e32 v2, v2, v9
	global_inv scope:SCOPE_SE
	v_fmac_f32_e32 v24, v1, v9
	v_mul_f32_e32 v26, v6, v15
	v_fma_f32 v1, v1, v10, -v2
	s_delay_alu instid0(VALU_DEP_2) | instskip(SKIP_2) | instid1(VALU_DEP_2)
	v_fmac_f32_e32 v26, v5, v14
	v_mul_f32_e32 v8, v8, v16
	v_mul_f32_e32 v4, v4, v11
	v_fma_f32 v8, v7, v17, -v8
	v_mul_f32_e32 v6, v6, v14
	s_delay_alu instid0(VALU_DEP_3) | instskip(NEXT) | instid1(VALU_DEP_3)
	v_fma_f32 v2, v3, v12, -v4
	v_sub_f32_e32 v9, v1, v8
	s_delay_alu instid0(VALU_DEP_3) | instskip(SKIP_1) | instid1(VALU_DEP_4)
	v_fma_f32 v4, v5, v15, -v6
	v_add_f32_e32 v15, v23, v1
	v_sub_f32_e32 v31, v2, v1
	s_delay_alu instid0(VALU_DEP_3)
	v_sub_f32_e32 v29, v8, v4
	v_dual_add_f32 v3, v24, v22 :: v_dual_sub_f32 v10, v2, v4
	v_add_f32_e32 v11, v24, v27
	v_add_f32_e32 v5, v25, v26
	v_dual_sub_f32 v7, v27, v26 :: v_dual_sub_f32 v12, v25, v24
	v_sub_f32_e32 v17, v24, v27
	v_dual_sub_f32 v14, v26, v27 :: v_dual_add_f32 v3, v3, v25
	v_add_f32_e32 v16, v2, v4
	v_add_f32_e32 v30, v1, v8
	v_sub_f32_e32 v6, v24, v25
	v_sub_f32_e32 v24, v25, v26
	;; [unrolled: 1-line block ×3, first 2 shown]
	v_fma_f32 v1, -0.5, v5, v22
	v_fma_f32 v22, -0.5, v11, v22
	v_add_f32_e32 v25, v6, v7
	v_add_f32_e32 v11, v12, v14
	;; [unrolled: 1-line block ×3, first 2 shown]
	v_fma_f32 v2, -0.5, v16, v23
	v_add_f32_e32 v7, v3, v26
	v_dual_fmac_f32 v23, -0.5, v30 :: v_dual_sub_f32 v32, v4, v8
	v_dual_fmamk_f32 v3, v9, 0xbf737871, v1 :: v_dual_add_f32 v12, v28, v29
	v_fmamk_f32 v5, v10, 0x3f737871, v22
	v_fmac_f32_e32 v1, 0x3f737871, v9
	v_dual_fmac_f32 v22, 0xbf737871, v10 :: v_dual_add_f32 v15, v6, v4
	v_fmamk_f32 v4, v17, 0x3f737871, v2
	v_dual_fmac_f32 v2, 0xbf737871, v17 :: v_dual_add_f32 v7, v7, v27
	v_fmamk_f32 v6, v24, 0xbf737871, v23
	v_fmac_f32_e32 v23, 0x3f737871, v24
	v_dual_add_f32 v14, v31, v32 :: v_dual_fmac_f32 v3, 0xbf167918, v10
	v_dual_fmac_f32 v1, 0x3f167918, v10 :: v_dual_fmac_f32 v22, 0x3f167918, v9
	v_fmac_f32_e32 v4, 0x3f167918, v24
	v_dual_fmac_f32 v5, 0xbf167918, v9 :: v_dual_add_f32 v8, v15, v8
	v_dual_fmac_f32 v2, 0xbf167918, v24 :: v_dual_fmac_f32 v23, 0xbf167918, v17
	v_fmac_f32_e32 v6, 0x3f167918, v17
	v_dual_fmac_f32 v3, 0x3e9e377a, v25 :: v_dual_fmac_f32 v22, 0x3e9e377a, v11
	v_dual_fmac_f32 v1, 0x3e9e377a, v25 :: v_dual_fmac_f32 v4, 0x3e9e377a, v12
	s_delay_alu instid0(VALU_DEP_3)
	v_dual_fmac_f32 v5, 0x3e9e377a, v11 :: v_dual_fmac_f32 v6, 0x3e9e377a, v14
	v_dual_fmac_f32 v23, 0x3e9e377a, v14 :: v_dual_fmac_f32 v2, 0x3e9e377a, v12
	ds_store_2addr_b64 v21, v[7:8], v[3:4] offset1:8
	ds_store_2addr_b64 v21, v[5:6], v[22:23] offset0:16 offset1:24
	ds_store_b64 v21, v[1:2] offset:256
	global_wb scope:SCOPE_SE
	s_wait_dscnt 0x0
	s_barrier_signal -1
	s_barrier_wait -1
	global_inv scope:SCOPE_SE
	s_clause 0x1
	global_load_b128 v[1:4], v20, s[4:5] offset:256
	global_load_b128 v[5:8], v20, s[4:5] offset:272
	v_and_b32_e32 v9, 0xffff, v0
	s_mul_u64 s[4:5], s[12:13], s[16:17]
	ds_load_2addr_b32 v[32:33], v19 offset1:1
	v_mul_u32_u24_e32 v9, 0x199a, v9
	s_delay_alu instid0(VALU_DEP_1) | instskip(NEXT) | instid1(VALU_DEP_1)
	v_lshrrev_b32_e32 v20, 16, v9
	v_mul_lo_u16 v9, v20, 10
	v_mul_lo_u32 v12, s8, v20
	s_mul_i32 s8, s8, 40
	s_delay_alu instid0(VALU_DEP_2) | instskip(NEXT) | instid1(VALU_DEP_2)
	v_sub_nc_u16 v11, v0, v9
	v_lshlrev_b64_e32 v[24:25], 3, v[12:13]
	s_delay_alu instid0(VALU_DEP_2) | instskip(SKIP_1) | instid1(VALU_DEP_2)
	v_and_b32_e32 v14, 0xffff, v11
	v_mul_lo_u16 v15, 0xc8, v11
	v_mad_co_u64_u32 v[9:10], null, s0, v14, 0
	s_delay_alu instid0(VALU_DEP_1) | instskip(SKIP_1) | instid1(VALU_DEP_1)
	v_mov_b32_e32 v0, v10
	s_wait_loadcnt 0x1
	v_mad_co_u64_u32 v[10:11], null, s1, v14, v[0:1]
	v_lshlrev_b32_e32 v11, 3, v20
	ds_load_2addr_b64 v[20:23], v18 offset0:120 offset1:160
	v_and_b32_e32 v0, 0xffff, v15
	ds_load_2addr_b64 v[14:17], v18 offset0:40 offset1:80
	s_lshl_b64 s[0:1], s[4:5], 3
	s_wait_alu 0xfffe
	v_add_nc_u32_e32 v12, s8, v12
	v_lshlrev_b64_e32 v[9:10], 3, v[9:10]
	s_add_nc_u64 s[0:1], s[2:3], s[0:1]
	global_wb scope:SCOPE_SE
	s_wait_loadcnt_dscnt 0x0
	s_barrier_signal -1
	v_lshlrev_b64_e32 v[26:27], 3, v[12:13]
	s_barrier_wait -1
	s_wait_alu 0xfffe
	v_add_co_u32 v36, vcc_lo, s0, v9
	s_wait_alu 0xfffd
	v_add_co_ci_u32_e32 v37, vcc_lo, s1, v10, vcc_lo
	global_inv scope:SCOPE_SE
	v_mul_f32_e32 v10, v6, v21
	s_delay_alu instid0(VALU_DEP_1) | instskip(SKIP_1) | instid1(VALU_DEP_2)
	v_dual_mul_f32 v9, v4, v17 :: v_dual_fmac_f32 v10, v5, v20
	v_lshlrev_b32_e32 v0, 3, v0
	v_fmac_f32_e32 v9, v3, v16
	v_add_nc_u32_e32 v12, s8, v12
	s_delay_alu instid0(VALU_DEP_3) | instskip(SKIP_2) | instid1(VALU_DEP_1)
	v_add3_u32 v34, 0, v0, v11
	v_add3_u32 v35, 0, v11, v0
	v_mul_f32_e32 v0, v2, v15
	v_fmac_f32_e32 v0, v1, v14
	v_mul_f32_e32 v2, v2, v14
	s_delay_alu instid0(VALU_DEP_1) | instskip(SKIP_1) | instid1(VALU_DEP_1)
	v_fma_f32 v1, v1, v15, -v2
	v_mul_f32_e32 v4, v4, v16
	v_fma_f32 v2, v3, v17, -v4
	v_sub_f32_e32 v17, v9, v0
	v_mul_f32_e32 v6, v6, v20
	v_add_f32_e32 v20, v33, v1
	s_delay_alu instid0(VALU_DEP_4) | instskip(NEXT) | instid1(VALU_DEP_3)
	v_dual_sub_f32 v38, v1, v2 :: v_dual_sub_f32 v41, v2, v1
	v_fma_f32 v3, v5, v21, -v6
	v_add_f32_e32 v5, v9, v10
	v_lshlrev_b64_e32 v[28:29], 3, v[12:13]
	v_add_nc_u32_e32 v12, s8, v12
	s_delay_alu instid0(VALU_DEP_4) | instskip(NEXT) | instid1(VALU_DEP_2)
	v_dual_sub_f32 v6, v0, v9 :: v_dual_add_f32 v21, v2, v3
	v_lshlrev_b64_e32 v[30:31], 3, v[12:13]
	v_add_nc_u32_e32 v12, s8, v12
	s_delay_alu instid0(VALU_DEP_1) | instskip(SKIP_1) | instid1(VALU_DEP_1)
	v_lshlrev_b64_e32 v[11:12], 3, v[12:13]
	v_mul_f32_e32 v13, v8, v23
	v_fmac_f32_e32 v13, v7, v22
	s_delay_alu instid0(VALU_DEP_1) | instskip(SKIP_1) | instid1(VALU_DEP_1)
	v_sub_f32_e32 v15, v13, v10
	v_mul_f32_e32 v8, v8, v22
	v_fma_f32 v8, v7, v23, -v8
	s_delay_alu instid0(VALU_DEP_1) | instskip(SKIP_3) | instid1(VALU_DEP_4)
	v_add_f32_e32 v40, v1, v8
	v_sub_f32_e32 v7, v1, v8
	v_fma_f32 v1, -0.5, v21, v33
	v_sub_f32_e32 v39, v8, v3
	v_dual_fmac_f32 v33, -0.5, v40 :: v_dual_sub_f32 v22, v0, v13
	v_sub_f32_e32 v42, v3, v8
	v_add_f32_e32 v4, v0, v32
	v_add_f32_e32 v16, v0, v13
	v_fma_f32 v0, -0.5, v5, v32
	v_add_f32_e32 v5, v20, v2
	s_delay_alu instid0(VALU_DEP_4) | instskip(SKIP_3) | instid1(VALU_DEP_4)
	v_dual_sub_f32 v23, v9, v10 :: v_dual_add_f32 v4, v4, v9
	v_sub_f32_e32 v14, v2, v3
	v_sub_f32_e32 v19, v10, v13
	v_dual_add_f32 v9, v6, v15 :: v_dual_fmamk_f32 v2, v7, 0xbf737871, v0
	v_add_f32_e32 v6, v4, v10
	v_dual_add_f32 v10, v5, v3 :: v_dual_fmamk_f32 v5, v23, 0xbf737871, v33
	v_fma_f32 v32, -0.5, v16, v32
	v_fmamk_f32 v3, v22, 0x3f737871, v1
	v_fmac_f32_e32 v1, 0xbf737871, v22
	v_fmac_f32_e32 v33, 0x3f737871, v23
	;; [unrolled: 1-line block ×3, first 2 shown]
	v_fmamk_f32 v4, v14, 0x3f737871, v32
	v_dual_fmac_f32 v32, 0xbf737871, v14 :: v_dual_add_f32 v15, v17, v19
	v_fmac_f32_e32 v2, 0xbf167918, v14
	v_fmac_f32_e32 v3, 0x3f167918, v23
	s_delay_alu instid0(VALU_DEP_4) | instskip(NEXT) | instid1(VALU_DEP_4)
	v_fmac_f32_e32 v4, 0xbf167918, v7
	v_dual_fmac_f32 v32, 0x3f167918, v7 :: v_dual_add_f32 v7, v10, v8
	v_fmac_f32_e32 v5, 0x3f167918, v22
	v_dual_add_f32 v17, v41, v42 :: v_dual_add_f32 v16, v38, v39
	v_fmac_f32_e32 v33, 0xbf167918, v22
	v_fmac_f32_e32 v0, 0x3f167918, v14
	;; [unrolled: 1-line block ×3, first 2 shown]
	s_delay_alu instid0(VALU_DEP_4) | instskip(SKIP_1) | instid1(VALU_DEP_3)
	v_fmac_f32_e32 v5, 0x3e9e377a, v17
	v_dual_fmac_f32 v2, 0x3e9e377a, v9 :: v_dual_fmac_f32 v3, 0x3e9e377a, v16
	v_dual_add_f32 v6, v6, v13 :: v_dual_fmac_f32 v1, 0x3e9e377a, v16
	v_fmac_f32_e32 v4, 0x3e9e377a, v15
	v_dual_fmac_f32 v32, 0x3e9e377a, v15 :: v_dual_fmac_f32 v33, 0x3e9e377a, v17
	v_fmac_f32_e32 v0, 0x3e9e377a, v9
	ds_store_2addr_b64 v18, v[6:7], v[2:3] offset1:40
	ds_store_2addr_b64 v18, v[4:5], v[32:33] offset0:80 offset1:120
	ds_store_b64 v18, v[0:1] offset:1280
	global_wb scope:SCOPE_SE
	s_wait_dscnt 0x0
	s_barrier_signal -1
	s_barrier_wait -1
	global_inv scope:SCOPE_SE
	ds_load_b64 v[8:9], v34
	ds_load_2addr_b64 v[0:3], v35 offset0:40 offset1:80
	ds_load_2addr_b64 v[4:7], v35 offset0:120 offset1:160
	v_add_co_u32 v13, vcc_lo, v36, v24
	s_wait_alu 0xfffd
	v_add_co_ci_u32_e32 v14, vcc_lo, v37, v25, vcc_lo
	v_add_co_u32 v15, vcc_lo, v36, v26
	s_wait_alu 0xfffd
	v_add_co_ci_u32_e32 v16, vcc_lo, v37, v27, vcc_lo
	;; [unrolled: 3-line block ×5, first 2 shown]
	s_wait_dscnt 0x2
	global_store_b64 v[13:14], v[8:9], off
	s_wait_dscnt 0x1
	s_clause 0x1
	global_store_b64 v[15:16], v[0:1], off
	global_store_b64 v[17:18], v[2:3], off
	s_wait_dscnt 0x0
	s_clause 0x1
	global_store_b64 v[19:20], v[4:5], off
	global_store_b64 v[10:11], v[6:7], off
	s_nop 0
	s_sendmsg sendmsg(MSG_DEALLOC_VGPRS)
	s_endpgm
	.section	.rodata,"a",@progbits
	.p2align	6, 0x0
	.amdhsa_kernel fft_rtc_back_len200_factors_8_5_5_wgs_400_tpt_40_sp_op_CI_CI_sbrc_z_xy_aligned
		.amdhsa_group_segment_fixed_size 0
		.amdhsa_private_segment_fixed_size 0
		.amdhsa_kernarg_size 104
		.amdhsa_user_sgpr_count 2
		.amdhsa_user_sgpr_dispatch_ptr 0
		.amdhsa_user_sgpr_queue_ptr 0
		.amdhsa_user_sgpr_kernarg_segment_ptr 1
		.amdhsa_user_sgpr_dispatch_id 0
		.amdhsa_user_sgpr_private_segment_size 0
		.amdhsa_wavefront_size32 1
		.amdhsa_uses_dynamic_stack 0
		.amdhsa_enable_private_segment 0
		.amdhsa_system_sgpr_workgroup_id_x 1
		.amdhsa_system_sgpr_workgroup_id_y 0
		.amdhsa_system_sgpr_workgroup_id_z 0
		.amdhsa_system_sgpr_workgroup_info 0
		.amdhsa_system_vgpr_workitem_id 0
		.amdhsa_next_free_vgpr 43
		.amdhsa_next_free_sgpr 22
		.amdhsa_reserve_vcc 1
		.amdhsa_float_round_mode_32 0
		.amdhsa_float_round_mode_16_64 0
		.amdhsa_float_denorm_mode_32 3
		.amdhsa_float_denorm_mode_16_64 3
		.amdhsa_fp16_overflow 0
		.amdhsa_workgroup_processor_mode 1
		.amdhsa_memory_ordered 1
		.amdhsa_forward_progress 0
		.amdhsa_round_robin_scheduling 0
		.amdhsa_exception_fp_ieee_invalid_op 0
		.amdhsa_exception_fp_denorm_src 0
		.amdhsa_exception_fp_ieee_div_zero 0
		.amdhsa_exception_fp_ieee_overflow 0
		.amdhsa_exception_fp_ieee_underflow 0
		.amdhsa_exception_fp_ieee_inexact 0
		.amdhsa_exception_int_div_zero 0
	.end_amdhsa_kernel
	.text
.Lfunc_end0:
	.size	fft_rtc_back_len200_factors_8_5_5_wgs_400_tpt_40_sp_op_CI_CI_sbrc_z_xy_aligned, .Lfunc_end0-fft_rtc_back_len200_factors_8_5_5_wgs_400_tpt_40_sp_op_CI_CI_sbrc_z_xy_aligned
                                        ; -- End function
	.section	.AMDGPU.csdata,"",@progbits
; Kernel info:
; codeLenInByte = 3204
; NumSgprs: 24
; NumVgprs: 43
; ScratchSize: 0
; MemoryBound: 0
; FloatMode: 240
; IeeeMode: 1
; LDSByteSize: 0 bytes/workgroup (compile time only)
; SGPRBlocks: 2
; VGPRBlocks: 5
; NumSGPRsForWavesPerEU: 24
; NumVGPRsForWavesPerEU: 43
; Occupancy: 13
; WaveLimiterHint : 1
; COMPUTE_PGM_RSRC2:SCRATCH_EN: 0
; COMPUTE_PGM_RSRC2:USER_SGPR: 2
; COMPUTE_PGM_RSRC2:TRAP_HANDLER: 0
; COMPUTE_PGM_RSRC2:TGID_X_EN: 1
; COMPUTE_PGM_RSRC2:TGID_Y_EN: 0
; COMPUTE_PGM_RSRC2:TGID_Z_EN: 0
; COMPUTE_PGM_RSRC2:TIDIG_COMP_CNT: 0
	.text
	.p2alignl 7, 3214868480
	.fill 96, 4, 3214868480
	.type	__hip_cuid_afcd8036c754b87a,@object ; @__hip_cuid_afcd8036c754b87a
	.section	.bss,"aw",@nobits
	.globl	__hip_cuid_afcd8036c754b87a
__hip_cuid_afcd8036c754b87a:
	.byte	0                               ; 0x0
	.size	__hip_cuid_afcd8036c754b87a, 1

	.ident	"AMD clang version 19.0.0git (https://github.com/RadeonOpenCompute/llvm-project roc-6.4.0 25133 c7fe45cf4b819c5991fe208aaa96edf142730f1d)"
	.section	".note.GNU-stack","",@progbits
	.addrsig
	.addrsig_sym __hip_cuid_afcd8036c754b87a
	.amdgpu_metadata
---
amdhsa.kernels:
  - .args:
      - .actual_access:  read_only
        .address_space:  global
        .offset:         0
        .size:           8
        .value_kind:     global_buffer
      - .offset:         8
        .size:           8
        .value_kind:     by_value
      - .actual_access:  read_only
        .address_space:  global
        .offset:         16
        .size:           8
        .value_kind:     global_buffer
      - .actual_access:  read_only
        .address_space:  global
        .offset:         24
        .size:           8
        .value_kind:     global_buffer
      - .actual_access:  read_only
        .address_space:  global
        .offset:         32
        .size:           8
        .value_kind:     global_buffer
      - .offset:         40
        .size:           8
        .value_kind:     by_value
      - .actual_access:  read_only
        .address_space:  global
        .offset:         48
        .size:           8
        .value_kind:     global_buffer
      - .actual_access:  read_only
        .address_space:  global
        .offset:         56
        .size:           8
        .value_kind:     global_buffer
      - .offset:         64
        .size:           4
        .value_kind:     by_value
      - .actual_access:  read_only
        .address_space:  global
        .offset:         72
        .size:           8
        .value_kind:     global_buffer
      - .actual_access:  read_only
        .address_space:  global
        .offset:         80
        .size:           8
        .value_kind:     global_buffer
      - .actual_access:  read_only
        .address_space:  global
        .offset:         88
        .size:           8
        .value_kind:     global_buffer
      - .actual_access:  write_only
        .address_space:  global
        .offset:         96
        .size:           8
        .value_kind:     global_buffer
    .group_segment_fixed_size: 0
    .kernarg_segment_align: 8
    .kernarg_segment_size: 104
    .language:       OpenCL C
    .language_version:
      - 2
      - 0
    .max_flat_workgroup_size: 400
    .name:           fft_rtc_back_len200_factors_8_5_5_wgs_400_tpt_40_sp_op_CI_CI_sbrc_z_xy_aligned
    .private_segment_fixed_size: 0
    .sgpr_count:     24
    .sgpr_spill_count: 0
    .symbol:         fft_rtc_back_len200_factors_8_5_5_wgs_400_tpt_40_sp_op_CI_CI_sbrc_z_xy_aligned.kd
    .uniform_work_group_size: 1
    .uses_dynamic_stack: false
    .vgpr_count:     43
    .vgpr_spill_count: 0
    .wavefront_size: 32
    .workgroup_processor_mode: 1
amdhsa.target:   amdgcn-amd-amdhsa--gfx1201
amdhsa.version:
  - 1
  - 2
...

	.end_amdgpu_metadata
